;; amdgpu-corpus repo=ROCm/rocFFT kind=compiled arch=gfx1030 opt=O3
	.text
	.amdgcn_target "amdgcn-amd-amdhsa--gfx1030"
	.amdhsa_code_object_version 6
	.protected	fft_rtc_back_len528_factors_4_4_3_11_wgs_48_tpt_48_halfLds_dp_ip_CI_unitstride_sbrr_dirReg ; -- Begin function fft_rtc_back_len528_factors_4_4_3_11_wgs_48_tpt_48_halfLds_dp_ip_CI_unitstride_sbrr_dirReg
	.globl	fft_rtc_back_len528_factors_4_4_3_11_wgs_48_tpt_48_halfLds_dp_ip_CI_unitstride_sbrr_dirReg
	.p2align	8
	.type	fft_rtc_back_len528_factors_4_4_3_11_wgs_48_tpt_48_halfLds_dp_ip_CI_unitstride_sbrr_dirReg,@function
fft_rtc_back_len528_factors_4_4_3_11_wgs_48_tpt_48_halfLds_dp_ip_CI_unitstride_sbrr_dirReg: ; @fft_rtc_back_len528_factors_4_4_3_11_wgs_48_tpt_48_halfLds_dp_ip_CI_unitstride_sbrr_dirReg
; %bb.0:
	s_clause 0x2
	s_load_dwordx4 s[8:11], s[4:5], 0x0
	s_load_dwordx2 s[2:3], s[4:5], 0x50
	s_load_dwordx2 s[12:13], s[4:5], 0x18
	v_mul_u32_u24_e32 v1, 0x556, v0
	v_mov_b32_e32 v3, 0
	v_add_nc_u32_sdwa v5, s6, v1 dst_sel:DWORD dst_unused:UNUSED_PAD src0_sel:DWORD src1_sel:WORD_1
	v_mov_b32_e32 v1, 0
	v_mov_b32_e32 v6, v3
	v_mov_b32_e32 v2, 0
	s_waitcnt lgkmcnt(0)
	v_cmp_lt_u64_e64 s0, s[10:11], 2
	s_and_b32 vcc_lo, exec_lo, s0
	s_cbranch_vccnz .LBB0_8
; %bb.1:
	s_load_dwordx2 s[0:1], s[4:5], 0x10
	v_mov_b32_e32 v1, 0
	s_add_u32 s6, s12, 8
	v_mov_b32_e32 v2, 0
	s_addc_u32 s7, s13, 0
	s_mov_b64 s[16:17], 1
	s_waitcnt lgkmcnt(0)
	s_add_u32 s14, s0, 8
	s_addc_u32 s15, s1, 0
.LBB0_2:                                ; =>This Inner Loop Header: Depth=1
	s_load_dwordx2 s[18:19], s[14:15], 0x0
                                        ; implicit-def: $vgpr7_vgpr8
	s_mov_b32 s0, exec_lo
	s_waitcnt lgkmcnt(0)
	v_or_b32_e32 v4, s19, v6
	v_cmpx_ne_u64_e32 0, v[3:4]
	s_xor_b32 s1, exec_lo, s0
	s_cbranch_execz .LBB0_4
; %bb.3:                                ;   in Loop: Header=BB0_2 Depth=1
	v_cvt_f32_u32_e32 v4, s18
	v_cvt_f32_u32_e32 v7, s19
	s_sub_u32 s0, 0, s18
	s_subb_u32 s20, 0, s19
	v_fmac_f32_e32 v4, 0x4f800000, v7
	v_rcp_f32_e32 v4, v4
	v_mul_f32_e32 v4, 0x5f7ffffc, v4
	v_mul_f32_e32 v7, 0x2f800000, v4
	v_trunc_f32_e32 v7, v7
	v_fmac_f32_e32 v4, 0xcf800000, v7
	v_cvt_u32_f32_e32 v7, v7
	v_cvt_u32_f32_e32 v4, v4
	v_mul_lo_u32 v8, s0, v7
	v_mul_hi_u32 v9, s0, v4
	v_mul_lo_u32 v10, s20, v4
	v_add_nc_u32_e32 v8, v9, v8
	v_mul_lo_u32 v9, s0, v4
	v_add_nc_u32_e32 v8, v8, v10
	v_mul_hi_u32 v10, v4, v9
	v_mul_lo_u32 v11, v4, v8
	v_mul_hi_u32 v12, v4, v8
	v_mul_hi_u32 v13, v7, v9
	v_mul_lo_u32 v9, v7, v9
	v_mul_hi_u32 v14, v7, v8
	v_mul_lo_u32 v8, v7, v8
	v_add_co_u32 v10, vcc_lo, v10, v11
	v_add_co_ci_u32_e32 v11, vcc_lo, 0, v12, vcc_lo
	v_add_co_u32 v9, vcc_lo, v10, v9
	v_add_co_ci_u32_e32 v9, vcc_lo, v11, v13, vcc_lo
	v_add_co_ci_u32_e32 v10, vcc_lo, 0, v14, vcc_lo
	v_add_co_u32 v8, vcc_lo, v9, v8
	v_add_co_ci_u32_e32 v9, vcc_lo, 0, v10, vcc_lo
	v_add_co_u32 v4, vcc_lo, v4, v8
	v_add_co_ci_u32_e32 v7, vcc_lo, v7, v9, vcc_lo
	v_mul_hi_u32 v8, s0, v4
	v_mul_lo_u32 v10, s20, v4
	v_mul_lo_u32 v9, s0, v7
	v_add_nc_u32_e32 v8, v8, v9
	v_mul_lo_u32 v9, s0, v4
	v_add_nc_u32_e32 v8, v8, v10
	v_mul_hi_u32 v10, v4, v9
	v_mul_lo_u32 v11, v4, v8
	v_mul_hi_u32 v12, v4, v8
	v_mul_hi_u32 v13, v7, v9
	v_mul_lo_u32 v9, v7, v9
	v_mul_hi_u32 v14, v7, v8
	v_mul_lo_u32 v8, v7, v8
	v_add_co_u32 v10, vcc_lo, v10, v11
	v_add_co_ci_u32_e32 v11, vcc_lo, 0, v12, vcc_lo
	v_add_co_u32 v9, vcc_lo, v10, v9
	v_add_co_ci_u32_e32 v9, vcc_lo, v11, v13, vcc_lo
	v_add_co_ci_u32_e32 v10, vcc_lo, 0, v14, vcc_lo
	v_add_co_u32 v8, vcc_lo, v9, v8
	v_add_co_ci_u32_e32 v9, vcc_lo, 0, v10, vcc_lo
	v_add_co_u32 v4, vcc_lo, v4, v8
	v_add_co_ci_u32_e32 v11, vcc_lo, v7, v9, vcc_lo
	v_mul_hi_u32 v13, v5, v4
	v_mad_u64_u32 v[9:10], null, v6, v4, 0
	v_mad_u64_u32 v[7:8], null, v5, v11, 0
	;; [unrolled: 1-line block ×3, first 2 shown]
	v_add_co_u32 v4, vcc_lo, v13, v7
	v_add_co_ci_u32_e32 v7, vcc_lo, 0, v8, vcc_lo
	v_add_co_u32 v4, vcc_lo, v4, v9
	v_add_co_ci_u32_e32 v4, vcc_lo, v7, v10, vcc_lo
	v_add_co_ci_u32_e32 v7, vcc_lo, 0, v12, vcc_lo
	v_add_co_u32 v4, vcc_lo, v4, v11
	v_add_co_ci_u32_e32 v9, vcc_lo, 0, v7, vcc_lo
	v_mul_lo_u32 v10, s19, v4
	v_mad_u64_u32 v[7:8], null, s18, v4, 0
	v_mul_lo_u32 v11, s18, v9
	v_sub_co_u32 v7, vcc_lo, v5, v7
	v_add3_u32 v8, v8, v11, v10
	v_sub_nc_u32_e32 v10, v6, v8
	v_subrev_co_ci_u32_e64 v10, s0, s19, v10, vcc_lo
	v_add_co_u32 v11, s0, v4, 2
	v_add_co_ci_u32_e64 v12, s0, 0, v9, s0
	v_sub_co_u32 v13, s0, v7, s18
	v_sub_co_ci_u32_e32 v8, vcc_lo, v6, v8, vcc_lo
	v_subrev_co_ci_u32_e64 v10, s0, 0, v10, s0
	v_cmp_le_u32_e32 vcc_lo, s18, v13
	v_cmp_eq_u32_e64 s0, s19, v8
	v_cndmask_b32_e64 v13, 0, -1, vcc_lo
	v_cmp_le_u32_e32 vcc_lo, s19, v10
	v_cndmask_b32_e64 v14, 0, -1, vcc_lo
	v_cmp_le_u32_e32 vcc_lo, s18, v7
	;; [unrolled: 2-line block ×3, first 2 shown]
	v_cndmask_b32_e64 v15, 0, -1, vcc_lo
	v_cmp_eq_u32_e32 vcc_lo, s19, v10
	v_cndmask_b32_e64 v7, v15, v7, s0
	v_cndmask_b32_e32 v10, v14, v13, vcc_lo
	v_add_co_u32 v13, vcc_lo, v4, 1
	v_add_co_ci_u32_e32 v14, vcc_lo, 0, v9, vcc_lo
	v_cmp_ne_u32_e32 vcc_lo, 0, v10
	v_cndmask_b32_e32 v8, v14, v12, vcc_lo
	v_cndmask_b32_e32 v10, v13, v11, vcc_lo
	v_cmp_ne_u32_e32 vcc_lo, 0, v7
	v_cndmask_b32_e32 v8, v9, v8, vcc_lo
	v_cndmask_b32_e32 v7, v4, v10, vcc_lo
.LBB0_4:                                ;   in Loop: Header=BB0_2 Depth=1
	s_andn2_saveexec_b32 s0, s1
	s_cbranch_execz .LBB0_6
; %bb.5:                                ;   in Loop: Header=BB0_2 Depth=1
	v_cvt_f32_u32_e32 v4, s18
	s_sub_i32 s1, 0, s18
	v_rcp_iflag_f32_e32 v4, v4
	v_mul_f32_e32 v4, 0x4f7ffffe, v4
	v_cvt_u32_f32_e32 v4, v4
	v_mul_lo_u32 v7, s1, v4
	v_mul_hi_u32 v7, v4, v7
	v_add_nc_u32_e32 v4, v4, v7
	v_mul_hi_u32 v4, v5, v4
	v_mul_lo_u32 v7, v4, s18
	v_add_nc_u32_e32 v8, 1, v4
	v_sub_nc_u32_e32 v7, v5, v7
	v_subrev_nc_u32_e32 v9, s18, v7
	v_cmp_le_u32_e32 vcc_lo, s18, v7
	v_cndmask_b32_e32 v7, v7, v9, vcc_lo
	v_cndmask_b32_e32 v4, v4, v8, vcc_lo
	v_cmp_le_u32_e32 vcc_lo, s18, v7
	v_add_nc_u32_e32 v8, 1, v4
	v_cndmask_b32_e32 v7, v4, v8, vcc_lo
	v_mov_b32_e32 v8, v3
.LBB0_6:                                ;   in Loop: Header=BB0_2 Depth=1
	s_or_b32 exec_lo, exec_lo, s0
	s_load_dwordx2 s[0:1], s[6:7], 0x0
	v_mul_lo_u32 v4, v8, s18
	v_mul_lo_u32 v11, v7, s19
	v_mad_u64_u32 v[9:10], null, v7, s18, 0
	s_add_u32 s16, s16, 1
	s_addc_u32 s17, s17, 0
	s_add_u32 s6, s6, 8
	s_addc_u32 s7, s7, 0
	;; [unrolled: 2-line block ×3, first 2 shown]
	v_add3_u32 v4, v10, v11, v4
	v_sub_co_u32 v5, vcc_lo, v5, v9
	v_sub_co_ci_u32_e32 v4, vcc_lo, v6, v4, vcc_lo
	s_waitcnt lgkmcnt(0)
	v_mul_lo_u32 v6, s1, v5
	v_mul_lo_u32 v4, s0, v4
	v_mad_u64_u32 v[1:2], null, s0, v5, v[1:2]
	v_cmp_ge_u64_e64 s0, s[16:17], s[10:11]
	s_and_b32 vcc_lo, exec_lo, s0
	v_add3_u32 v2, v6, v2, v4
	s_cbranch_vccnz .LBB0_9
; %bb.7:                                ;   in Loop: Header=BB0_2 Depth=1
	v_mov_b32_e32 v5, v7
	v_mov_b32_e32 v6, v8
	s_branch .LBB0_2
.LBB0_8:
	v_mov_b32_e32 v8, v6
	v_mov_b32_e32 v7, v5
.LBB0_9:
	s_lshl_b64 s[0:1], s[10:11], 3
	v_mul_hi_u32 v3, 0x5555556, v0
	s_add_u32 s0, s12, s0
	s_addc_u32 s1, s13, s1
	v_mov_b32_e32 v72, 0
	s_load_dwordx2 s[0:1], s[0:1], 0x0
	s_load_dwordx2 s[4:5], s[4:5], 0x20
                                        ; implicit-def: $vgpr28_vgpr29
                                        ; implicit-def: $vgpr24_vgpr25
                                        ; implicit-def: $vgpr32_vgpr33
                                        ; implicit-def: $vgpr38_vgpr39
                                        ; implicit-def: $vgpr50_vgpr51
                                        ; implicit-def: $vgpr20_vgpr21
                                        ; implicit-def: $vgpr46_vgpr47
                                        ; implicit-def: $vgpr16_vgpr17
                                        ; implicit-def: $vgpr42_vgpr43
                                        ; implicit-def: $vgpr12_vgpr13
	v_mul_u32_u24_e32 v3, 48, v3
	v_sub_nc_u32_e32 v56, v0, v3
	s_waitcnt lgkmcnt(0)
	v_mul_lo_u32 v4, s0, v8
	v_mul_lo_u32 v5, s1, v7
	v_mad_u64_u32 v[1:2], null, s0, v7, v[1:2]
	v_cmp_gt_u64_e32 vcc_lo, s[4:5], v[7:8]
                                        ; implicit-def: $vgpr8_vgpr9
	v_add3_u32 v2, v5, v2, v4
                                        ; implicit-def: $vgpr4_vgpr5
	v_lshlrev_b64 v[74:75], 4, v[1:2]
	s_and_saveexec_b32 s1, vcc_lo
	s_cbranch_execz .LBB0_13
; %bb.10:
	v_mov_b32_e32 v57, 0
	v_add_co_u32 v2, s0, s2, v74
	v_add_co_ci_u32_e64 v3, s0, s3, v75, s0
	v_lshlrev_b64 v[0:1], 4, v[56:57]
	s_mov_b32 s4, exec_lo
                                        ; implicit-def: $vgpr18_vgpr19
                                        ; implicit-def: $vgpr48_vgpr49
                                        ; implicit-def: $vgpr36_vgpr37
                                        ; implicit-def: $vgpr30_vgpr31
	v_add_co_u32 v20, s0, v2, v0
	v_add_co_ci_u32_e64 v21, s0, v3, v1, s0
	v_add_co_u32 v32, s0, 0x800, v20
	v_add_co_ci_u32_e64 v33, s0, 0, v21, s0
	;; [unrolled: 2-line block ×4, first 2 shown]
	s_clause 0x7
	global_load_dwordx4 v[10:13], v[20:21], off
	global_load_dwordx4 v[14:17], v[20:21], off offset:768
	global_load_dwordx4 v[2:5], v[32:33], off offset:64
	;; [unrolled: 1-line block ×7, first 2 shown]
	v_cmpx_gt_u32_e32 36, v56
; %bb.11:
	s_clause 0x3
	global_load_dwordx4 v[18:21], v[20:21], off offset:1536
	global_load_dwordx4 v[30:33], v[32:33], off offset:1600
	;; [unrolled: 1-line block ×4, first 2 shown]
; %bb.12:
	s_or_b32 exec_lo, exec_lo, s4
	v_mov_b32_e32 v72, v56
.LBB0_13:
	s_or_b32 exec_lo, exec_lo, s1
	s_waitcnt vmcnt(3)
	v_add_f64 v[52:53], v[10:11], -v[26:27]
	s_waitcnt vmcnt(1)
	v_add_f64 v[26:27], v[2:3], -v[40:41]
	v_add_f64 v[65:66], v[18:19], -v[36:37]
	s_waitcnt vmcnt(0)
	v_add_f64 v[57:58], v[30:31], -v[48:49]
	v_add_f64 v[40:41], v[14:15], -v[22:23]
	;; [unrolled: 1-line block ×6, first 2 shown]
	v_cmp_gt_u32_e64 s0, 36, v56
	v_fma_f64 v[10:11], v[10:11], 2.0, -v[52:53]
	v_fma_f64 v[0:1], v[2:3], 2.0, -v[26:27]
	;; [unrolled: 1-line block ×6, first 2 shown]
	v_add_f64 v[46:47], v[63:64], v[40:41]
	v_add_f64 v[2:3], v[59:60], v[65:66]
	;; [unrolled: 1-line block ×3, first 2 shown]
	v_add_f64 v[34:35], v[10:11], -v[0:1]
	v_add_f64 v[0:1], v[18:19], -v[30:31]
	;; [unrolled: 1-line block ×3, first 2 shown]
	v_fma_f64 v[54:55], v[40:41], 2.0, -v[46:47]
	v_fma_f64 v[42:43], v[65:66], 2.0, -v[2:3]
	;; [unrolled: 1-line block ×3, first 2 shown]
	v_add_nc_u32_e32 v66, 48, v56
	v_add_nc_u32_e32 v65, 0x60, v56
	v_fma_f64 v[48:49], v[10:11], 2.0, -v[34:35]
	v_fma_f64 v[40:41], v[18:19], 2.0, -v[0:1]
	v_lshl_add_u32 v18, v56, 5, 0
	v_fma_f64 v[52:53], v[14:15], 2.0, -v[44:45]
	v_lshl_add_u32 v15, v66, 5, 0
	v_lshl_add_u32 v14, v65, 5, 0
	ds_write_b128 v18, v[34:37] offset:16
	ds_write_b128 v15, v[44:47] offset:16
	ds_write_b128 v18, v[48:51]
	ds_write_b128 v15, v[52:55]
	s_and_saveexec_b32 s1, s0
	s_cbranch_execz .LBB0_15
; %bb.14:
	ds_write_b128 v14, v[40:43]
	ds_write_b128 v14, v[0:3] offset:16
.LBB0_15:
	s_or_b32 exec_lo, exec_lo, s1
	v_mad_i32_i24 v6, 0xffffffe8, v56, v18
	s_waitcnt lgkmcnt(0)
	s_barrier
	buffer_gl0_inv
	v_add_nc_u32_e32 v7, 0x800, v6
	ds_read2_b64 v[44:47], v6 offset1:48
	ds_read2_b64 v[52:55], v6 offset0:132 offset1:180
	ds_read2_b64 v[34:37], v7 offset0:8 offset1:56
	;; [unrolled: 1-line block ×3, first 2 shown]
	v_mul_i32_i24_e32 v6, 0xffffffe8, v56
	v_add_nc_u32_e32 v73, v18, v6
	s_and_saveexec_b32 s1, s0
	s_cbranch_execz .LBB0_17
; %bb.16:
	v_add_nc_u32_e32 v0, 0x800, v73
	ds_read2_b64 v[40:43], v73 offset0:96 offset1:228
	ds_read2_b64 v[0:3], v0 offset0:104 offset1:236
.LBB0_17:
	s_or_b32 exec_lo, exec_lo, s1
	v_add_f64 v[38:39], v[20:21], -v[38:39]
	v_add_f64 v[6:7], v[12:13], -v[28:29]
	;; [unrolled: 1-line block ×3, first 2 shown]
	v_fma_f64 v[10:11], v[32:33], 2.0, -v[59:60]
	v_fma_f64 v[4:5], v[4:5], 2.0, -v[61:62]
	;; [unrolled: 1-line block ×3, first 2 shown]
	s_waitcnt lgkmcnt(0)
	s_barrier
	buffer_gl0_inv
	v_fma_f64 v[19:20], v[20:21], 2.0, -v[38:39]
	v_fma_f64 v[61:62], v[12:13], 2.0, -v[6:7]
	;; [unrolled: 1-line block ×3, first 2 shown]
	v_add_f64 v[24:25], v[6:7], -v[26:27]
	v_add_f64 v[12:13], v[38:39], -v[57:58]
	;; [unrolled: 1-line block ×6, first 2 shown]
	v_fma_f64 v[32:33], v[6:7], 2.0, -v[24:25]
	v_fma_f64 v[8:9], v[38:39], 2.0, -v[12:13]
	;; [unrolled: 1-line block ×6, first 2 shown]
	ds_write_b128 v18, v[22:25] offset:16
	ds_write_b128 v18, v[30:33]
	ds_write_b128 v15, v[57:60]
	ds_write_b128 v15, v[26:29] offset:16
	s_and_saveexec_b32 s1, s0
	s_cbranch_execz .LBB0_19
; %bb.18:
	ds_write_b128 v14, v[6:9]
	ds_write_b128 v14, v[10:13] offset:16
.LBB0_19:
	s_or_b32 exec_lo, exec_lo, s1
	v_add_nc_u32_e32 v4, 0x800, v73
	s_waitcnt lgkmcnt(0)
	s_barrier
	buffer_gl0_inv
	ds_read2_b64 v[14:17], v73 offset1:48
	ds_read2_b64 v[22:25], v73 offset0:132 offset1:180
	ds_read2_b64 v[18:21], v4 offset0:8 offset1:56
	;; [unrolled: 1-line block ×3, first 2 shown]
	v_lshlrev_b32_e32 v39, 2, v56
	v_lshlrev_b32_e32 v38, 2, v66
	s_and_saveexec_b32 s1, s0
	s_cbranch_execz .LBB0_21
; %bb.20:
	ds_read2_b64 v[6:9], v73 offset0:96 offset1:228
	ds_read2_b64 v[10:13], v4 offset0:104 offset1:236
.LBB0_21:
	s_or_b32 exec_lo, exec_lo, s1
	v_and_b32_e32 v67, 3, v56
	v_mul_u32_u24_e32 v4, 3, v67
	v_lshlrev_b32_e32 v4, 4, v4
	s_clause 0x2
	global_load_dwordx4 v[57:60], v4, s[8:9]
	global_load_dwordx4 v[26:29], v4, s[8:9] offset:16
	global_load_dwordx4 v[61:64], v4, s[8:9] offset:32
	s_waitcnt vmcnt(0) lgkmcnt(0)
	s_barrier
	buffer_gl0_inv
	v_mul_f64 v[4:5], v[22:23], v[59:60]
	v_mul_f64 v[68:69], v[24:25], v[59:60]
	;; [unrolled: 1-line block ×13, first 2 shown]
	v_fma_f64 v[4:5], v[52:53], v[57:58], v[4:5]
	v_fma_f64 v[68:69], v[54:55], v[57:58], v[68:69]
	;; [unrolled: 1-line block ×6, first 2 shown]
	v_mul_f64 v[80:81], v[12:13], v[63:64]
	v_mul_f64 v[63:64], v[2:3], v[63:64]
	v_fma_f64 v[54:55], v[22:23], v[57:58], -v[82:83]
	v_fma_f64 v[52:53], v[24:25], v[57:58], -v[84:85]
	;; [unrolled: 1-line block ×4, first 2 shown]
	v_fma_f64 v[30:31], v[42:43], v[57:58], v[90:91]
	v_fma_f64 v[8:9], v[8:9], v[57:58], -v[59:60]
	v_fma_f64 v[32:33], v[0:1], v[26:27], v[92:93]
	v_add_f64 v[42:43], v[44:45], -v[70:71]
	v_add_f64 v[50:51], v[4:5], -v[48:49]
	;; [unrolled: 1-line block ×4, first 2 shown]
	v_fma_f64 v[2:3], v[2:3], v[61:62], v[80:81]
	v_fma_f64 v[63:64], v[12:13], v[61:62], -v[63:64]
	v_add_f64 v[61:62], v[54:55], -v[22:23]
	v_add_f64 v[59:60], v[52:53], -v[24:25]
	;; [unrolled: 1-line block ×3, first 2 shown]
	v_fma_f64 v[32:33], v[44:45], 2.0, -v[42:43]
	v_fma_f64 v[4:5], v[4:5], 2.0, -v[50:51]
	;; [unrolled: 1-line block ×4, first 2 shown]
	v_add_f64 v[12:13], v[30:31], -v[2:3]
	v_add_f64 v[63:64], v[8:9], -v[63:64]
	v_lshlrev_b32_e32 v68, 2, v65
	v_add_f64 v[76:77], v[42:43], v[61:62]
	v_add_f64 v[78:79], v[48:49], v[59:60]
	v_fma_f64 v[22:23], v[40:41], 2.0, -v[24:25]
	v_add_f64 v[40:41], v[32:33], -v[4:5]
	v_add_f64 v[80:81], v[44:45], -v[46:47]
	v_fma_f64 v[2:3], v[30:31], 2.0, -v[12:13]
	v_add_f64 v[46:47], v[24:25], v[63:64]
	v_fma_f64 v[30:31], v[42:43], 2.0, -v[76:77]
	v_fma_f64 v[42:43], v[48:49], 2.0, -v[78:79]
	;; [unrolled: 1-line block ×4, first 2 shown]
	v_add_f64 v[4:5], v[22:23], -v[2:3]
	v_fma_f64 v[2:3], v[24:25], 2.0, -v[46:47]
	v_and_or_b32 v24, 0xf0, v39, v67
	v_and_or_b32 v25, 0x1f0, v38, v67
	v_lshl_add_u32 v70, v24, 3, 0
	v_lshl_add_u32 v69, v25, 3, 0
	ds_write2_b64 v70, v[40:41], v[76:77] offset0:8 offset1:12
	ds_write2_b64 v70, v[32:33], v[30:31] offset1:4
	ds_write2_b64 v69, v[44:45], v[42:43] offset1:4
	ds_write2_b64 v69, v[80:81], v[78:79] offset0:8 offset1:12
	s_and_saveexec_b32 s1, s0
	s_cbranch_execz .LBB0_23
; %bb.22:
	v_fma_f64 v[22:23], v[22:23], 2.0, -v[4:5]
	v_and_or_b32 v24, 0x3f0, v68, v67
	v_lshl_add_u32 v24, v24, 3, 0
	ds_write2_b64 v24, v[22:23], v[2:3] offset1:4
	ds_write2_b64 v24, v[4:5], v[46:47] offset0:8 offset1:12
.LBB0_23:
	s_or_b32 exec_lo, exec_lo, s1
	v_add_nc_u32_e32 v38, 0x800, v73
	v_lshl_add_u32 v78, v56, 3, 0
	s_waitcnt lgkmcnt(0)
	s_barrier
	buffer_gl0_inv
	ds_read2_b64 v[22:25], v73 offset1:48
	ds_read2_b64 v[42:45], v73 offset0:176 offset1:224
	ds_read2_b64 v[30:33], v38 offset0:16 offset1:96
	;; [unrolled: 1-line block ×3, first 2 shown]
	ds_read_b64 v[48:49], v78 offset:768
	v_cmp_gt_u32_e64 s1, 32, v56
	s_and_saveexec_b32 s4, s1
	s_cbranch_execz .LBB0_25
; %bb.24:
	v_add_nc_u32_e32 v2, 0x400, v78
	ds_read2_b64 v[2:5], v2 offset0:16 offset1:192
	ds_read_b64 v[46:47], v73 offset:3968
.LBB0_25:
	s_or_b32 exec_lo, exec_lo, s4
	v_mul_f64 v[34:35], v[34:35], v[28:29]
	v_mul_f64 v[36:37], v[36:37], v[28:29]
	;; [unrolled: 1-line block ×3, first 2 shown]
	v_fma_f64 v[8:9], v[8:9], 2.0, -v[63:64]
	s_waitcnt lgkmcnt(0)
	s_barrier
	buffer_gl0_inv
	v_fma_f64 v[18:19], v[18:19], v[26:27], -v[34:35]
	v_fma_f64 v[20:21], v[20:21], v[26:27], -v[36:37]
	;; [unrolled: 1-line block ×3, first 2 shown]
	v_fma_f64 v[10:11], v[54:55], 2.0, -v[61:62]
	v_fma_f64 v[26:27], v[52:53], 2.0, -v[59:60]
	v_add_f64 v[18:19], v[14:15], -v[18:19]
	v_add_f64 v[20:21], v[16:17], -v[20:21]
	;; [unrolled: 1-line block ×3, first 2 shown]
	v_fma_f64 v[14:15], v[14:15], 2.0, -v[18:19]
	v_fma_f64 v[16:17], v[16:17], 2.0, -v[20:21]
	;; [unrolled: 1-line block ×3, first 2 shown]
	v_add_f64 v[34:35], v[28:29], -v[12:13]
	v_add_f64 v[36:37], v[18:19], -v[50:51]
	v_add_f64 v[50:51], v[20:21], -v[57:58]
	v_add_f64 v[10:11], v[14:15], -v[10:11]
	v_add_f64 v[26:27], v[16:17], -v[26:27]
	v_add_f64 v[8:9], v[0:1], -v[8:9]
	v_fma_f64 v[6:7], v[28:29], 2.0, -v[34:35]
	v_fma_f64 v[12:13], v[18:19], 2.0, -v[36:37]
	;; [unrolled: 1-line block ×5, first 2 shown]
	ds_write2_b64 v70, v[10:11], v[36:37] offset0:8 offset1:12
	ds_write2_b64 v70, v[14:15], v[12:13] offset1:4
	ds_write2_b64 v69, v[16:17], v[18:19] offset1:4
	ds_write2_b64 v69, v[26:27], v[50:51] offset0:8 offset1:12
	s_and_saveexec_b32 s4, s0
	s_cbranch_execz .LBB0_27
; %bb.26:
	v_fma_f64 v[0:1], v[0:1], 2.0, -v[8:9]
	v_and_or_b32 v10, 0x3f0, v68, v67
	v_lshl_add_u32 v10, v10, 3, 0
	ds_write2_b64 v10, v[0:1], v[6:7] offset1:4
	ds_write2_b64 v10, v[8:9], v[34:35] offset0:8 offset1:12
.LBB0_27:
	s_or_b32 exec_lo, exec_lo, s4
	v_add_nc_u32_e32 v0, 0x800, v73
	s_waitcnt lgkmcnt(0)
	s_barrier
	buffer_gl0_inv
	ds_read2_b64 v[10:13], v73 offset1:48
	ds_read2_b64 v[26:29], v73 offset0:176 offset1:224
	ds_read2_b64 v[18:21], v0 offset0:16 offset1:96
	;; [unrolled: 1-line block ×3, first 2 shown]
	ds_read_b64 v[0:1], v78 offset:768
	s_and_saveexec_b32 s0, s1
	s_cbranch_execz .LBB0_29
; %bb.28:
	v_add_nc_u32_e32 v6, 0x400, v78
	ds_read2_b64 v[6:9], v6 offset0:16 offset1:192
	ds_read_b64 v[34:35], v73 offset:3968
.LBB0_29:
	s_or_b32 exec_lo, exec_lo, s0
	v_and_b32_e32 v52, 15, v56
	s_mov_b32 s4, 0xe8584caa
	s_mov_b32 s5, 0xbfebb67a
	s_mov_b32 s7, 0x3febb67a
	s_mov_b32 s6, s4
	v_lshlrev_b32_e32 v36, 5, v52
	v_lshrrev_b32_e32 v55, 4, v56
	v_lshrrev_b32_e32 v71, 4, v66
	s_clause 0x1
	global_load_dwordx4 v[57:60], v36, s[8:9] offset:192
	global_load_dwordx4 v[61:64], v36, s[8:9] offset:208
	s_waitcnt vmcnt(0) lgkmcnt(0)
	s_barrier
	buffer_gl0_inv
	v_mul_f64 v[36:37], v[26:27], v[59:60]
	v_mul_f64 v[50:51], v[20:21], v[63:64]
	;; [unrolled: 1-line block ×12, first 2 shown]
	v_fma_f64 v[42:43], v[42:43], v[57:58], v[36:37]
	v_fma_f64 v[50:51], v[32:33], v[61:62], v[50:51]
	;; [unrolled: 1-line block ×6, first 2 shown]
	v_fma_f64 v[26:27], v[26:27], v[57:58], -v[79:80]
	v_fma_f64 v[20:21], v[20:21], v[61:62], -v[81:82]
	;; [unrolled: 1-line block ×6, first 2 shown]
	v_mul_f64 v[67:68], v[8:9], v[59:60]
	v_mul_f64 v[59:60], v[4:5], v[59:60]
	;; [unrolled: 1-line block ×3, first 2 shown]
	v_lshrrev_b32_e32 v89, 4, v65
	v_add_f64 v[76:77], v[22:23], v[42:43]
	v_add_f64 v[44:45], v[42:43], v[50:51]
	;; [unrolled: 1-line block ×6, first 2 shown]
	v_add_f64 v[79:80], v[26:27], -v[20:21]
	v_add_f64 v[87:88], v[18:19], -v[40:41]
	;; [unrolled: 1-line block ×3, first 2 shown]
	v_fma_f64 v[22:23], v[44:45], -0.5, v[22:23]
	v_fma_f64 v[44:45], v[46:47], v[61:62], v[69:70]
	v_fma_f64 v[16:17], v[16:17], -0.5, v[48:49]
	v_mul_f64 v[48:49], v[46:47], v[63:64]
	v_fma_f64 v[53:54], v[53:54], -0.5, v[24:25]
	v_fma_f64 v[24:25], v[4:5], v[57:58], v[67:68]
	v_fma_f64 v[4:5], v[8:9], v[57:58], -v[59:60]
	v_add_f64 v[8:9], v[76:77], v[50:51]
	v_add_f64 v[57:58], v[81:82], v[38:39]
	;; [unrolled: 1-line block ×3, first 2 shown]
	v_mul_u32_u24_e32 v46, 48, v55
	v_add_nc_u32_e32 v47, 0x90, v56
	v_or_b32_e32 v55, v46, v52
	v_lshrrev_b32_e32 v46, 4, v47
	v_lshl_add_u32 v47, v55, 3, 0
	v_fma_f64 v[63:64], v[79:80], s[4:5], v[22:23]
	v_fma_f64 v[22:23], v[79:80], s[6:7], v[22:23]
	;; [unrolled: 1-line block ×3, first 2 shown]
	v_fma_f64 v[34:35], v[34:35], v[61:62], -v[48:49]
	v_fma_f64 v[65:66], v[85:86], s[4:5], v[53:54]
	v_fma_f64 v[53:54], v[85:86], s[6:7], v[53:54]
	;; [unrolled: 1-line block ×3, first 2 shown]
	v_mul_u32_u24_e32 v48, 48, v71
	v_mul_u32_u24_e32 v49, 48, v89
	v_or_b32_e32 v48, v48, v52
	v_or_b32_e32 v49, v49, v52
	v_lshl_add_u32 v48, v48, 3, 0
	v_lshl_add_u32 v49, v49, 3, 0
	ds_write2_b64 v47, v[8:9], v[63:64] offset1:16
	ds_write_b64 v47, v[22:23] offset:256
	ds_write2_b64 v48, v[57:58], v[65:66] offset1:16
	ds_write_b64 v48, v[53:54] offset:256
	;; [unrolled: 2-line block ×3, first 2 shown]
	s_and_saveexec_b32 s0, s1
	s_cbranch_execz .LBB0_31
; %bb.30:
	v_add_f64 v[8:9], v[24:25], v[44:45]
	v_add_f64 v[16:17], v[4:5], -v[34:35]
	v_add_f64 v[22:23], v[2:3], v[24:25]
	v_fma_f64 v[2:3], v[8:9], -0.5, v[2:3]
	v_add_f64 v[8:9], v[22:23], v[44:45]
	v_fma_f64 v[22:23], v[16:17], s[4:5], v[2:3]
	v_fma_f64 v[2:3], v[16:17], s[6:7], v[2:3]
	v_mul_u32_u24_e32 v16, 48, v46
	v_or_b32_e32 v16, v16, v52
	v_lshl_add_u32 v16, v16, 3, 0
	ds_write2_b64 v16, v[8:9], v[22:23] offset1:16
	ds_write_b64 v16, v[2:3] offset:256
.LBB0_31:
	s_or_b32 exec_lo, exec_lo, s0
	v_add_f64 v[2:3], v[26:27], v[20:21]
	v_add_f64 v[8:9], v[28:29], v[14:15]
	;; [unrolled: 1-line block ×4, first 2 shown]
	v_add_f64 v[26:27], v[42:43], -v[50:51]
	v_add_f64 v[42:43], v[0:1], v[18:19]
	v_add_f64 v[28:29], v[12:13], v[28:29]
	v_add_f64 v[32:33], v[32:33], -v[38:39]
	v_add_f64 v[30:31], v[30:31], -v[36:37]
	v_add_nc_u32_e32 v55, 0x800, v73
	s_waitcnt lgkmcnt(0)
	s_barrier
	buffer_gl0_inv
	v_fma_f64 v[50:51], v[2:3], -0.5, v[10:11]
	v_fma_f64 v[12:13], v[8:9], -0.5, v[12:13]
	;; [unrolled: 1-line block ×3, first 2 shown]
	v_add_f64 v[38:39], v[22:23], v[20:21]
	ds_read2_b64 v[0:3], v73 offset1:48
	ds_read2_b64 v[8:11], v78 offset0:96 offset1:144
	ds_read2_b64 v[16:19], v73 offset0:192 offset1:240
	v_add_f64 v[40:41], v[42:43], v[40:41]
	v_add_f64 v[28:29], v[28:29], v[14:15]
	v_fma_f64 v[42:43], v[26:27], s[6:7], v[50:51]
	v_fma_f64 v[26:27], v[26:27], s[4:5], v[50:51]
	;; [unrolled: 1-line block ×4, first 2 shown]
	ds_read_b64 v[76:77], v73 offset:3840
	ds_read2_b64 v[20:23], v55 offset0:32 offset1:80
	ds_read2_b64 v[12:15], v55 offset0:128 offset1:176
	v_fma_f64 v[53:54], v[30:31], s[6:7], v[36:37]
	v_fma_f64 v[30:31], v[30:31], s[4:5], v[36:37]
	s_waitcnt lgkmcnt(0)
	s_barrier
	buffer_gl0_inv
	ds_write2_b64 v47, v[38:39], v[42:43] offset1:16
	ds_write_b64 v47, v[26:27] offset:256
	ds_write2_b64 v48, v[28:29], v[50:51] offset1:16
	ds_write_b64 v48, v[32:33] offset:256
	;; [unrolled: 2-line block ×3, first 2 shown]
	s_and_saveexec_b32 s0, s1
	s_cbranch_execz .LBB0_33
; %bb.32:
	v_add_f64 v[26:27], v[4:5], v[34:35]
	v_add_f64 v[24:25], v[24:25], -v[44:45]
	v_add_f64 v[4:5], v[6:7], v[4:5]
	s_mov_b32 s5, 0x3febb67a
	s_mov_b32 s4, 0xe8584caa
	v_fma_f64 v[26:27], v[26:27], -0.5, v[6:7]
	v_add_f64 v[4:5], v[4:5], v[34:35]
	v_fma_f64 v[6:7], v[24:25], s[4:5], v[26:27]
	s_mov_b32 s5, 0xbfebb67a
	v_fma_f64 v[24:25], v[24:25], s[4:5], v[26:27]
	v_mul_u32_u24_e32 v26, 48, v46
	v_or_b32_e32 v26, v26, v52
	v_lshl_add_u32 v26, v26, 3, 0
	ds_write2_b64 v26, v[4:5], v[6:7] offset1:16
	ds_write_b64 v26, v[24:25] offset:256
.LBB0_33:
	s_or_b32 exec_lo, exec_lo, s0
	s_waitcnt lgkmcnt(0)
	s_barrier
	buffer_gl0_inv
	s_and_saveexec_b32 s0, vcc_lo
	s_cbranch_execz .LBB0_35
; %bb.34:
	v_mul_u32_u24_e32 v4, 10, v56
	v_add_nc_u32_e32 v80, 0x800, v73
	v_add_co_u32 v74, vcc_lo, s2, v74
	v_add_co_ci_u32_e32 v75, vcc_lo, s3, v75, vcc_lo
	v_lshlrev_b32_e32 v4, 4, v4
	v_or_b32_e32 v89, 0xc0, v72
	s_mov_b32 s6, 0xbb3a28a1
	s_mov_b32 s10, 0xfd768dbf
	s_clause 0x9
	global_load_dwordx4 v[24:27], v4, s[8:9] offset:768
	global_load_dwordx4 v[48:51], v4, s[8:9] offset:752
	;; [unrolled: 1-line block ×10, first 2 shown]
	ds_read2_b64 v[68:71], v73 offset0:192 offset1:240
	ds_read2_b64 v[36:39], v78 offset0:96 offset1:144
	ds_read2_b64 v[4:7], v73 offset1:48
	ds_read_b64 v[78:79], v73 offset:3840
	ds_read2_b64 v[81:84], v80 offset0:32 offset1:80
	ds_read2_b64 v[85:88], v80 offset0:128 offset1:176
	v_mov_b32_e32 v73, 0
	s_mov_b32 s8, 0xf8bb580b
	s_mov_b32 s0, 0x43842ef
	;; [unrolled: 1-line block ×4, first 2 shown]
	v_lshlrev_b64 v[91:92], 4, v[72:73]
	v_mov_b32_e32 v90, v73
	s_mov_b32 s11, 0xbfd207e7
	s_mov_b32 s13, 0xbfe14ced
	s_mov_b32 s12, s8
	s_mov_b32 s1, 0xbfefac9e
	v_lshlrev_b64 v[89:90], 4, v[89:90]
	s_mov_b32 s5, 0x3fed1bb4
	s_mov_b32 s4, 0x8eee2c13
	v_or_b32_e32 v72, 0x180, v72
	s_mov_b32 s18, 0x7f775887
	s_mov_b32 s16, 0x9bcd5057
	;; [unrolled: 1-line block ×14, first 2 shown]
	s_waitcnt vmcnt(9)
	v_mul_f64 v[93:94], v[18:19], v[24:25]
	v_mul_f64 v[18:19], v[18:19], v[26:27]
	s_waitcnt vmcnt(8)
	v_mul_f64 v[95:96], v[16:17], v[48:49]
	v_mul_f64 v[16:17], v[16:17], v[50:51]
	s_waitcnt vmcnt(5)
	v_mul_f64 v[101:102], v[2:3], v[52:53]
	s_waitcnt vmcnt(4)
	v_mul_f64 v[103:104], v[76:77], v[56:57]
	v_mul_f64 v[2:3], v[2:3], v[54:55]
	;; [unrolled: 1-line block ×5, first 2 shown]
	s_waitcnt vmcnt(3)
	v_mul_f64 v[105:106], v[10:11], v[64:65]
	s_waitcnt vmcnt(1)
	v_mul_f64 v[109:110], v[8:9], v[28:29]
	;; [unrolled: 2-line block ×3, first 2 shown]
	v_mul_f64 v[8:9], v[8:9], v[30:31]
	v_mul_f64 v[14:15], v[14:15], v[34:35]
	;; [unrolled: 1-line block ×7, first 2 shown]
	s_waitcnt lgkmcnt(5)
	v_fma_f64 v[26:27], v[70:71], v[26:27], v[93:94]
	v_fma_f64 v[18:19], v[70:71], v[24:25], -v[18:19]
	v_fma_f64 v[24:25], v[68:69], v[50:51], v[95:96]
	v_fma_f64 v[16:17], v[68:69], v[48:49], -v[16:17]
	s_waitcnt lgkmcnt(3)
	v_fma_f64 v[48:49], v[6:7], v[54:55], v[101:102]
	s_waitcnt lgkmcnt(2)
	v_fma_f64 v[50:51], v[78:79], v[58:59], v[103:104]
	v_fma_f64 v[2:3], v[6:7], v[52:53], -v[2:3]
	v_fma_f64 v[52:53], v[78:79], v[56:57], -v[76:77]
	v_add_co_u32 v54, vcc_lo, v74, v91
	s_waitcnt lgkmcnt(1)
	v_fma_f64 v[20:21], v[81:82], v[40:41], -v[20:21]
	v_fma_f64 v[40:41], v[38:39], v[66:67], v[105:106]
	v_fma_f64 v[6:7], v[36:37], v[30:31], v[109:110]
	s_waitcnt lgkmcnt(0)
	v_fma_f64 v[30:31], v[87:88], v[34:35], v[111:112]
	v_fma_f64 v[8:9], v[36:37], v[28:29], -v[8:9]
	v_fma_f64 v[14:15], v[87:88], v[32:33], -v[14:15]
	v_add_co_ci_u32_e32 v55, vcc_lo, v75, v92, vcc_lo
	v_add_co_u32 v58, vcc_lo, 0x800, v54
	v_fma_f64 v[42:43], v[81:82], v[42:43], v[97:98]
	v_fma_f64 v[46:47], v[83:84], v[46:47], v[99:100]
	v_fma_f64 v[22:23], v[83:84], v[44:45], -v[22:23]
	v_fma_f64 v[44:45], v[85:86], v[62:63], v[107:108]
	v_fma_f64 v[10:11], v[38:39], v[64:65], -v[10:11]
	v_fma_f64 v[12:13], v[85:86], v[60:61], -v[12:13]
	v_add_co_ci_u32_e32 v59, vcc_lo, 0, v55, vcc_lo
	v_add_f64 v[32:33], v[48:49], -v[50:51]
	v_add_f64 v[66:67], v[2:3], -v[52:53]
	v_add_f64 v[68:69], v[2:3], v[52:53]
	v_add_f64 v[2:3], v[4:5], v[2:3]
	;; [unrolled: 1-line block ×4, first 2 shown]
	v_add_co_u32 v60, vcc_lo, v74, v89
	v_add_co_ci_u32_e32 v61, vcc_lo, v75, v90, vcc_lo
	v_add_f64 v[84:85], v[6:7], -v[30:31]
	v_add_f64 v[90:91], v[6:7], v[30:31]
	v_add_f64 v[38:39], v[18:19], -v[20:21]
	v_add_f64 v[88:89], v[8:9], -v[14:15]
	v_add_f64 v[36:37], v[26:27], -v[42:43]
	v_add_f64 v[28:29], v[24:25], -v[46:47]
	v_add_f64 v[34:35], v[16:17], -v[22:23]
	v_add_f64 v[62:63], v[40:41], -v[44:45]
	v_add_f64 v[92:93], v[26:27], v[42:43]
	v_add_f64 v[64:65], v[10:11], -v[12:13]
	v_lshlrev_b64 v[56:57], 4, v[72:73]
	v_add_f64 v[72:73], v[16:17], v[22:23]
	v_mul_f64 v[96:97], v[32:33], s[10:11]
	v_mul_f64 v[102:103], v[32:33], s[6:7]
	;; [unrolled: 1-line block ×3, first 2 shown]
	v_add_f64 v[2:3], v[8:9], v[2:3]
	v_mul_f64 v[114:115], v[66:67], s[10:11]
	v_add_f64 v[6:7], v[6:7], v[48:49]
	v_mul_f64 v[116:117], v[66:67], s[6:7]
	v_mul_f64 v[120:121], v[66:67], s[12:13]
	;; [unrolled: 1-line block ×4, first 2 shown]
	v_add_f64 v[76:77], v[18:19], v[20:21]
	v_add_f64 v[78:79], v[10:11], v[12:13]
	v_mul_f64 v[104:105], v[38:39], s[4:5]
	v_mul_f64 v[162:163], v[88:89], s[6:7]
	;; [unrolled: 1-line block ×8, first 2 shown]
	s_mov_b32 s5, 0xbfed1bb4
	v_mul_f64 v[166:167], v[38:39], s[6:7]
	v_mul_f64 v[168:169], v[38:39], s[8:9]
	;; [unrolled: 1-line block ×4, first 2 shown]
	v_add_f64 v[2:3], v[10:11], v[2:3]
	v_mul_f64 v[66:67], v[66:67], s[4:5]
	v_add_f64 v[6:7], v[40:41], v[6:7]
	v_add_f64 v[80:81], v[40:41], v[44:45]
	;; [unrolled: 1-line block ×4, first 2 shown]
	v_mul_f64 v[122:123], v[62:63], s[6:7]
	v_mul_f64 v[124:125], v[36:37], s[0:1]
	;; [unrolled: 1-line block ×16, first 2 shown]
	v_add_f64 v[2:3], v[16:17], v[2:3]
	v_mul_f64 v[142:143], v[34:35], s[10:11]
	v_add_f64 v[6:7], v[24:25], v[6:7]
	v_mul_f64 v[144:145], v[34:35], s[12:13]
	v_mul_f64 v[146:147], v[34:35], s[24:25]
	;; [unrolled: 1-line block ×12, first 2 shown]
	v_fma_f64 v[170:171], v[68:69], s[16:17], v[96:97]
	v_fma_f64 v[96:97], v[68:69], s[16:17], -v[96:97]
	v_fma_f64 v[172:173], v[68:69], s[18:19], v[102:103]
	v_fma_f64 v[102:103], v[68:69], s[18:19], -v[102:103]
	;; [unrolled: 2-line block ×3, first 2 shown]
	v_fma_f64 v[178:179], v[70:71], s[16:17], -v[114:115]
	v_fma_f64 v[114:115], v[70:71], s[16:17], v[114:115]
	v_fma_f64 v[180:181], v[70:71], s[18:19], -v[116:117]
	v_fma_f64 v[116:117], v[70:71], s[18:19], v[116:117]
	;; [unrolled: 2-line block ×3, first 2 shown]
	v_fma_f64 v[174:175], v[68:69], s[20:21], v[108:109]
	v_fma_f64 v[108:109], v[68:69], s[20:21], -v[108:109]
	v_fma_f64 v[182:183], v[70:71], s[20:21], -v[118:119]
	v_fma_f64 v[118:119], v[70:71], s[20:21], v[118:119]
	v_fma_f64 v[16:17], v[90:91], s[18:19], -v[162:163]
	v_fma_f64 v[24:25], v[90:91], s[18:19], v[162:163]
	;; [unrolled: 2-line block ×7, first 2 shown]
	v_fma_f64 v[92:93], v[68:69], s[14:15], v[32:33]
	v_fma_f64 v[32:33], v[68:69], s[14:15], -v[32:33]
	v_fma_f64 v[68:69], v[70:71], s[14:15], -v[66:67]
	v_fma_f64 v[66:67], v[70:71], s[14:15], v[66:67]
	v_add_f64 v[2:3], v[18:19], v[2:3]
	v_add_f64 v[6:7], v[26:27], v[6:7]
	v_fma_f64 v[186:187], v[76:77], s[20:21], v[124:125]
	v_fma_f64 v[124:125], v[76:77], s[20:21], -v[124:125]
	v_fma_f64 v[188:189], v[76:77], s[14:15], v[100:101]
	v_fma_f64 v[100:101], v[76:77], s[14:15], -v[100:101]
	;; [unrolled: 2-line block ×15, first 2 shown]
	v_fma_f64 v[10:11], v[80:81], s[18:19], -v[8:9]
	v_fma_f64 v[8:9], v[80:81], s[18:19], v[8:9]
	v_fma_f64 v[40:41], v[80:81], s[22:23], -v[48:49]
	v_fma_f64 v[48:49], v[80:81], s[22:23], v[48:49]
	;; [unrolled: 2-line block ×10, first 2 shown]
	v_fma_f64 v[82:83], v[86:87], s[22:23], v[148:149]
	v_fma_f64 v[148:149], v[86:87], s[22:23], -v[148:149]
	v_fma_f64 v[224:225], v[86:87], s[20:21], v[150:151]
	v_fma_f64 v[150:151], v[86:87], s[20:21], -v[150:151]
	v_fma_f64 v[226:227], v[86:87], s[16:17], v[152:153]
	v_fma_f64 v[152:153], v[86:87], s[16:17], -v[152:153]
	v_fma_f64 v[228:229], v[86:87], s[18:19], v[154:155]
	v_fma_f64 v[154:155], v[86:87], s[18:19], -v[154:155]
	v_fma_f64 v[230:231], v[90:91], s[22:23], -v[156:157]
	v_fma_f64 v[156:157], v[90:91], s[22:23], v[156:157]
	v_fma_f64 v[232:233], v[90:91], s[20:21], -v[158:159]
	v_fma_f64 v[158:159], v[90:91], s[20:21], v[158:159]
	v_fma_f64 v[234:235], v[90:91], s[16:17], -v[160:161]
	v_fma_f64 v[160:161], v[90:91], s[16:17], v[160:161]
	v_fma_f64 v[70:71], v[86:87], s[14:15], v[84:85]
	v_fma_f64 v[84:85], v[86:87], s[14:15], -v[84:85]
	v_fma_f64 v[86:87], v[90:91], s[14:15], -v[88:89]
	v_fma_f64 v[88:89], v[90:91], s[14:15], v[88:89]
	v_add_f64 v[18:19], v[4:5], v[170:171]
	v_add_f64 v[26:27], v[0:1], v[178:179]
	;; [unrolled: 1-line block ×110, first 2 shown]
	v_add_co_u32 v44, vcc_lo, 0x1000, v54
	v_add_co_ci_u32_e32 v45, vcc_lo, 0, v55, vcc_lo
	v_add_co_u32 v46, vcc_lo, v74, v56
	v_add_co_ci_u32_e32 v47, vcc_lo, v75, v57, vcc_lo
	;; [unrolled: 2-line block ×3, first 2 shown]
	global_store_dwordx4 v[54:55], v[24:27], off offset:768
	global_store_dwordx4 v[58:59], v[20:23], off offset:256
	global_store_dwordx4 v[60:61], v[12:15], off
	global_store_dwordx4 v[58:59], v[4:7], off offset:1792
	global_store_dwordx4 v[44:45], v[0:3], off offset:512
	;; [unrolled: 1-line block ×3, first 2 shown]
	global_store_dwordx4 v[46:47], v[16:19], off
	global_store_dwordx4 v[54:55], v[36:39], off offset:1536
	global_store_dwordx4 v[48:49], v[32:35], off offset:768
	global_store_dwordx4 v[54:55], v[40:43], off
	global_store_dwordx4 v[48:49], v[28:31], off offset:1536
.LBB0_35:
	s_endpgm
	.section	.rodata,"a",@progbits
	.p2align	6, 0x0
	.amdhsa_kernel fft_rtc_back_len528_factors_4_4_3_11_wgs_48_tpt_48_halfLds_dp_ip_CI_unitstride_sbrr_dirReg
		.amdhsa_group_segment_fixed_size 0
		.amdhsa_private_segment_fixed_size 0
		.amdhsa_kernarg_size 88
		.amdhsa_user_sgpr_count 6
		.amdhsa_user_sgpr_private_segment_buffer 1
		.amdhsa_user_sgpr_dispatch_ptr 0
		.amdhsa_user_sgpr_queue_ptr 0
		.amdhsa_user_sgpr_kernarg_segment_ptr 1
		.amdhsa_user_sgpr_dispatch_id 0
		.amdhsa_user_sgpr_flat_scratch_init 0
		.amdhsa_user_sgpr_private_segment_size 0
		.amdhsa_wavefront_size32 1
		.amdhsa_uses_dynamic_stack 0
		.amdhsa_system_sgpr_private_segment_wavefront_offset 0
		.amdhsa_system_sgpr_workgroup_id_x 1
		.amdhsa_system_sgpr_workgroup_id_y 0
		.amdhsa_system_sgpr_workgroup_id_z 0
		.amdhsa_system_sgpr_workgroup_info 0
		.amdhsa_system_vgpr_workitem_id 0
		.amdhsa_next_free_vgpr 244
		.amdhsa_next_free_sgpr 28
		.amdhsa_reserve_vcc 1
		.amdhsa_reserve_flat_scratch 0
		.amdhsa_float_round_mode_32 0
		.amdhsa_float_round_mode_16_64 0
		.amdhsa_float_denorm_mode_32 3
		.amdhsa_float_denorm_mode_16_64 3
		.amdhsa_dx10_clamp 1
		.amdhsa_ieee_mode 1
		.amdhsa_fp16_overflow 0
		.amdhsa_workgroup_processor_mode 1
		.amdhsa_memory_ordered 1
		.amdhsa_forward_progress 0
		.amdhsa_shared_vgpr_count 0
		.amdhsa_exception_fp_ieee_invalid_op 0
		.amdhsa_exception_fp_denorm_src 0
		.amdhsa_exception_fp_ieee_div_zero 0
		.amdhsa_exception_fp_ieee_overflow 0
		.amdhsa_exception_fp_ieee_underflow 0
		.amdhsa_exception_fp_ieee_inexact 0
		.amdhsa_exception_int_div_zero 0
	.end_amdhsa_kernel
	.text
.Lfunc_end0:
	.size	fft_rtc_back_len528_factors_4_4_3_11_wgs_48_tpt_48_halfLds_dp_ip_CI_unitstride_sbrr_dirReg, .Lfunc_end0-fft_rtc_back_len528_factors_4_4_3_11_wgs_48_tpt_48_halfLds_dp_ip_CI_unitstride_sbrr_dirReg
                                        ; -- End function
	.section	.AMDGPU.csdata,"",@progbits
; Kernel info:
; codeLenInByte = 7768
; NumSgprs: 30
; NumVgprs: 244
; ScratchSize: 0
; MemoryBound: 1
; FloatMode: 240
; IeeeMode: 1
; LDSByteSize: 0 bytes/workgroup (compile time only)
; SGPRBlocks: 3
; VGPRBlocks: 30
; NumSGPRsForWavesPerEU: 30
; NumVGPRsForWavesPerEU: 244
; Occupancy: 4
; WaveLimiterHint : 1
; COMPUTE_PGM_RSRC2:SCRATCH_EN: 0
; COMPUTE_PGM_RSRC2:USER_SGPR: 6
; COMPUTE_PGM_RSRC2:TRAP_HANDLER: 0
; COMPUTE_PGM_RSRC2:TGID_X_EN: 1
; COMPUTE_PGM_RSRC2:TGID_Y_EN: 0
; COMPUTE_PGM_RSRC2:TGID_Z_EN: 0
; COMPUTE_PGM_RSRC2:TIDIG_COMP_CNT: 0
	.text
	.p2alignl 6, 3214868480
	.fill 48, 4, 3214868480
	.type	__hip_cuid_fa229d17076cddc1,@object ; @__hip_cuid_fa229d17076cddc1
	.section	.bss,"aw",@nobits
	.globl	__hip_cuid_fa229d17076cddc1
__hip_cuid_fa229d17076cddc1:
	.byte	0                               ; 0x0
	.size	__hip_cuid_fa229d17076cddc1, 1

	.ident	"AMD clang version 19.0.0git (https://github.com/RadeonOpenCompute/llvm-project roc-6.4.0 25133 c7fe45cf4b819c5991fe208aaa96edf142730f1d)"
	.section	".note.GNU-stack","",@progbits
	.addrsig
	.addrsig_sym __hip_cuid_fa229d17076cddc1
	.amdgpu_metadata
---
amdhsa.kernels:
  - .args:
      - .actual_access:  read_only
        .address_space:  global
        .offset:         0
        .size:           8
        .value_kind:     global_buffer
      - .offset:         8
        .size:           8
        .value_kind:     by_value
      - .actual_access:  read_only
        .address_space:  global
        .offset:         16
        .size:           8
        .value_kind:     global_buffer
      - .actual_access:  read_only
        .address_space:  global
        .offset:         24
        .size:           8
        .value_kind:     global_buffer
      - .offset:         32
        .size:           8
        .value_kind:     by_value
      - .actual_access:  read_only
        .address_space:  global
        .offset:         40
        .size:           8
        .value_kind:     global_buffer
      - .actual_access:  read_only
        .address_space:  global
        .offset:         48
        .size:           8
        .value_kind:     global_buffer
      - .offset:         56
        .size:           4
        .value_kind:     by_value
      - .actual_access:  read_only
        .address_space:  global
        .offset:         64
        .size:           8
        .value_kind:     global_buffer
      - .actual_access:  read_only
        .address_space:  global
        .offset:         72
        .size:           8
        .value_kind:     global_buffer
      - .address_space:  global
        .offset:         80
        .size:           8
        .value_kind:     global_buffer
    .group_segment_fixed_size: 0
    .kernarg_segment_align: 8
    .kernarg_segment_size: 88
    .language:       OpenCL C
    .language_version:
      - 2
      - 0
    .max_flat_workgroup_size: 48
    .name:           fft_rtc_back_len528_factors_4_4_3_11_wgs_48_tpt_48_halfLds_dp_ip_CI_unitstride_sbrr_dirReg
    .private_segment_fixed_size: 0
    .sgpr_count:     30
    .sgpr_spill_count: 0
    .symbol:         fft_rtc_back_len528_factors_4_4_3_11_wgs_48_tpt_48_halfLds_dp_ip_CI_unitstride_sbrr_dirReg.kd
    .uniform_work_group_size: 1
    .uses_dynamic_stack: false
    .vgpr_count:     244
    .vgpr_spill_count: 0
    .wavefront_size: 32
    .workgroup_processor_mode: 1
amdhsa.target:   amdgcn-amd-amdhsa--gfx1030
amdhsa.version:
  - 1
  - 2
...

	.end_amdgpu_metadata
